;; amdgpu-corpus repo=ROCm/rocFFT kind=compiled arch=gfx906 opt=O3
	.text
	.amdgcn_target "amdgcn-amd-amdhsa--gfx906"
	.amdhsa_code_object_version 6
	.protected	fft_rtc_fwd_len384_factors_6_4_4_4_wgs_128_tpt_32_halfLds_dp_ip_CI_sbrr_dirReg ; -- Begin function fft_rtc_fwd_len384_factors_6_4_4_4_wgs_128_tpt_32_halfLds_dp_ip_CI_sbrr_dirReg
	.globl	fft_rtc_fwd_len384_factors_6_4_4_4_wgs_128_tpt_32_halfLds_dp_ip_CI_sbrr_dirReg
	.p2align	8
	.type	fft_rtc_fwd_len384_factors_6_4_4_4_wgs_128_tpt_32_halfLds_dp_ip_CI_sbrr_dirReg,@function
fft_rtc_fwd_len384_factors_6_4_4_4_wgs_128_tpt_32_halfLds_dp_ip_CI_sbrr_dirReg: ; @fft_rtc_fwd_len384_factors_6_4_4_4_wgs_128_tpt_32_halfLds_dp_ip_CI_sbrr_dirReg
; %bb.0:
	s_load_dwordx2 s[14:15], s[4:5], 0x18
	s_load_dwordx4 s[8:11], s[4:5], 0x0
	s_load_dwordx2 s[12:13], s[4:5], 0x50
	v_lshrrev_b32_e32 v55, 5, v0
	v_mov_b32_e32 v3, 0
	s_waitcnt lgkmcnt(0)
	s_load_dwordx2 s[2:3], s[14:15], 0x0
	v_cmp_lt_u64_e64 s[0:1], s[10:11], 2
	v_mov_b32_e32 v1, 0
	v_lshl_or_b32 v5, s6, 2, v55
	v_mov_b32_e32 v6, v3
	s_and_b64 vcc, exec, s[0:1]
	v_mov_b32_e32 v2, 0
	s_cbranch_vccnz .LBB0_8
; %bb.1:
	s_load_dwordx2 s[0:1], s[4:5], 0x10
	s_add_u32 s6, s14, 8
	s_addc_u32 s7, s15, 0
	v_mov_b32_e32 v1, 0
	v_mov_b32_e32 v2, 0
	s_waitcnt lgkmcnt(0)
	s_add_u32 s16, s0, 8
	s_addc_u32 s17, s1, 0
	s_mov_b64 s[18:19], 1
.LBB0_2:                                ; =>This Inner Loop Header: Depth=1
	s_load_dwordx2 s[20:21], s[16:17], 0x0
                                        ; implicit-def: $vgpr7_vgpr8
	s_waitcnt lgkmcnt(0)
	v_or_b32_e32 v4, s21, v6
	v_cmp_ne_u64_e32 vcc, 0, v[3:4]
	s_and_saveexec_b64 s[0:1], vcc
	s_xor_b64 s[22:23], exec, s[0:1]
	s_cbranch_execz .LBB0_4
; %bb.3:                                ;   in Loop: Header=BB0_2 Depth=1
	v_cvt_f32_u32_e32 v4, s20
	v_cvt_f32_u32_e32 v7, s21
	s_sub_u32 s0, 0, s20
	s_subb_u32 s1, 0, s21
	v_mac_f32_e32 v4, 0x4f800000, v7
	v_rcp_f32_e32 v4, v4
	v_mul_f32_e32 v4, 0x5f7ffffc, v4
	v_mul_f32_e32 v7, 0x2f800000, v4
	v_trunc_f32_e32 v7, v7
	v_mac_f32_e32 v4, 0xcf800000, v7
	v_cvt_u32_f32_e32 v7, v7
	v_cvt_u32_f32_e32 v4, v4
	v_mul_lo_u32 v8, s0, v7
	v_mul_hi_u32 v9, s0, v4
	v_mul_lo_u32 v11, s1, v4
	v_mul_lo_u32 v10, s0, v4
	v_add_u32_e32 v8, v9, v8
	v_add_u32_e32 v8, v8, v11
	v_mul_hi_u32 v9, v4, v10
	v_mul_lo_u32 v11, v4, v8
	v_mul_hi_u32 v13, v4, v8
	v_mul_hi_u32 v12, v7, v10
	v_mul_lo_u32 v10, v7, v10
	v_mul_hi_u32 v14, v7, v8
	v_add_co_u32_e32 v9, vcc, v9, v11
	v_addc_co_u32_e32 v11, vcc, 0, v13, vcc
	v_mul_lo_u32 v8, v7, v8
	v_add_co_u32_e32 v9, vcc, v9, v10
	v_addc_co_u32_e32 v9, vcc, v11, v12, vcc
	v_addc_co_u32_e32 v10, vcc, 0, v14, vcc
	v_add_co_u32_e32 v8, vcc, v9, v8
	v_addc_co_u32_e32 v9, vcc, 0, v10, vcc
	v_add_co_u32_e32 v4, vcc, v4, v8
	v_addc_co_u32_e32 v7, vcc, v7, v9, vcc
	v_mul_lo_u32 v8, s0, v7
	v_mul_hi_u32 v9, s0, v4
	v_mul_lo_u32 v10, s1, v4
	v_mul_lo_u32 v11, s0, v4
	v_add_u32_e32 v8, v9, v8
	v_add_u32_e32 v8, v8, v10
	v_mul_lo_u32 v12, v4, v8
	v_mul_hi_u32 v13, v4, v11
	v_mul_hi_u32 v14, v4, v8
	;; [unrolled: 1-line block ×3, first 2 shown]
	v_mul_lo_u32 v11, v7, v11
	v_mul_hi_u32 v9, v7, v8
	v_add_co_u32_e32 v12, vcc, v13, v12
	v_addc_co_u32_e32 v13, vcc, 0, v14, vcc
	v_mul_lo_u32 v8, v7, v8
	v_add_co_u32_e32 v11, vcc, v12, v11
	v_addc_co_u32_e32 v10, vcc, v13, v10, vcc
	v_addc_co_u32_e32 v9, vcc, 0, v9, vcc
	v_add_co_u32_e32 v8, vcc, v10, v8
	v_addc_co_u32_e32 v9, vcc, 0, v9, vcc
	v_add_co_u32_e32 v4, vcc, v4, v8
	v_addc_co_u32_e32 v9, vcc, v7, v9, vcc
	v_mad_u64_u32 v[7:8], s[0:1], v5, v9, 0
	v_mul_hi_u32 v10, v5, v4
	v_add_co_u32_e32 v11, vcc, v10, v7
	v_addc_co_u32_e32 v12, vcc, 0, v8, vcc
	v_mad_u64_u32 v[7:8], s[0:1], v6, v4, 0
	v_mad_u64_u32 v[9:10], s[0:1], v6, v9, 0
	v_add_co_u32_e32 v4, vcc, v11, v7
	v_addc_co_u32_e32 v4, vcc, v12, v8, vcc
	v_addc_co_u32_e32 v7, vcc, 0, v10, vcc
	v_add_co_u32_e32 v4, vcc, v4, v9
	v_addc_co_u32_e32 v9, vcc, 0, v7, vcc
	v_mul_lo_u32 v10, s21, v4
	v_mul_lo_u32 v11, s20, v9
	v_mad_u64_u32 v[7:8], s[0:1], s20, v4, 0
	v_add3_u32 v8, v8, v11, v10
	v_sub_u32_e32 v10, v6, v8
	v_mov_b32_e32 v11, s21
	v_sub_co_u32_e32 v7, vcc, v5, v7
	v_subb_co_u32_e64 v10, s[0:1], v10, v11, vcc
	v_subrev_co_u32_e64 v11, s[0:1], s20, v7
	v_subbrev_co_u32_e64 v10, s[0:1], 0, v10, s[0:1]
	v_cmp_le_u32_e64 s[0:1], s21, v10
	v_cndmask_b32_e64 v12, 0, -1, s[0:1]
	v_cmp_le_u32_e64 s[0:1], s20, v11
	v_cndmask_b32_e64 v11, 0, -1, s[0:1]
	v_cmp_eq_u32_e64 s[0:1], s21, v10
	v_cndmask_b32_e64 v10, v12, v11, s[0:1]
	v_add_co_u32_e64 v11, s[0:1], 2, v4
	v_addc_co_u32_e64 v12, s[0:1], 0, v9, s[0:1]
	v_add_co_u32_e64 v13, s[0:1], 1, v4
	v_addc_co_u32_e64 v14, s[0:1], 0, v9, s[0:1]
	v_subb_co_u32_e32 v8, vcc, v6, v8, vcc
	v_cmp_ne_u32_e64 s[0:1], 0, v10
	v_cmp_le_u32_e32 vcc, s21, v8
	v_cndmask_b32_e64 v10, v14, v12, s[0:1]
	v_cndmask_b32_e64 v12, 0, -1, vcc
	v_cmp_le_u32_e32 vcc, s20, v7
	v_cndmask_b32_e64 v7, 0, -1, vcc
	v_cmp_eq_u32_e32 vcc, s21, v8
	v_cndmask_b32_e32 v7, v12, v7, vcc
	v_cmp_ne_u32_e32 vcc, 0, v7
	v_cndmask_b32_e64 v7, v13, v11, s[0:1]
	v_cndmask_b32_e32 v8, v9, v10, vcc
	v_cndmask_b32_e32 v7, v4, v7, vcc
.LBB0_4:                                ;   in Loop: Header=BB0_2 Depth=1
	s_andn2_saveexec_b64 s[0:1], s[22:23]
	s_cbranch_execz .LBB0_6
; %bb.5:                                ;   in Loop: Header=BB0_2 Depth=1
	v_cvt_f32_u32_e32 v4, s20
	s_sub_i32 s22, 0, s20
	v_rcp_iflag_f32_e32 v4, v4
	v_mul_f32_e32 v4, 0x4f7ffffe, v4
	v_cvt_u32_f32_e32 v4, v4
	v_mul_lo_u32 v7, s22, v4
	v_mul_hi_u32 v7, v4, v7
	v_add_u32_e32 v4, v4, v7
	v_mul_hi_u32 v4, v5, v4
	v_mul_lo_u32 v7, v4, s20
	v_add_u32_e32 v8, 1, v4
	v_sub_u32_e32 v7, v5, v7
	v_subrev_u32_e32 v9, s20, v7
	v_cmp_le_u32_e32 vcc, s20, v7
	v_cndmask_b32_e32 v7, v7, v9, vcc
	v_cndmask_b32_e32 v4, v4, v8, vcc
	v_add_u32_e32 v8, 1, v4
	v_cmp_le_u32_e32 vcc, s20, v7
	v_cndmask_b32_e32 v7, v4, v8, vcc
	v_mov_b32_e32 v8, v3
.LBB0_6:                                ;   in Loop: Header=BB0_2 Depth=1
	s_or_b64 exec, exec, s[0:1]
	v_mul_lo_u32 v4, v8, s20
	v_mul_lo_u32 v11, v7, s21
	v_mad_u64_u32 v[9:10], s[0:1], v7, s20, 0
	s_load_dwordx2 s[0:1], s[6:7], 0x0
	s_add_u32 s18, s18, 1
	v_add3_u32 v4, v10, v11, v4
	v_sub_co_u32_e32 v5, vcc, v5, v9
	v_subb_co_u32_e32 v4, vcc, v6, v4, vcc
	s_waitcnt lgkmcnt(0)
	v_mul_lo_u32 v4, s0, v4
	v_mul_lo_u32 v6, s1, v5
	v_mad_u64_u32 v[1:2], s[0:1], s0, v5, v[1:2]
	s_addc_u32 s19, s19, 0
	s_add_u32 s6, s6, 8
	v_add3_u32 v2, v6, v2, v4
	v_mov_b32_e32 v4, s10
	v_mov_b32_e32 v5, s11
	s_addc_u32 s7, s7, 0
	v_cmp_ge_u64_e32 vcc, s[18:19], v[4:5]
	s_add_u32 s16, s16, 8
	s_addc_u32 s17, s17, 0
	s_cbranch_vccnz .LBB0_9
; %bb.7:                                ;   in Loop: Header=BB0_2 Depth=1
	v_mov_b32_e32 v5, v7
	v_mov_b32_e32 v6, v8
	s_branch .LBB0_2
.LBB0_8:
	v_mov_b32_e32 v8, v6
	v_mov_b32_e32 v7, v5
.LBB0_9:
	s_lshl_b64 s[0:1], s[10:11], 3
	s_add_u32 s0, s14, s0
	s_addc_u32 s1, s15, s1
	s_load_dwordx2 s[6:7], s[0:1], 0x0
	s_load_dwordx2 s[10:11], s[4:5], 0x20
	v_and_b32_e32 v50, 31, v0
	v_or_b32_e32 v52, 32, v50
	v_or_b32_e32 v51, 64, v50
	s_waitcnt lgkmcnt(0)
	v_mul_lo_u32 v3, s6, v8
	v_mul_lo_u32 v4, s7, v7
	v_mad_u64_u32 v[1:2], s[0:1], s6, v7, v[1:2]
	v_cmp_gt_u64_e32 vcc, s[10:11], v[7:8]
	v_cmp_le_u64_e64 s[0:1], s[10:11], v[7:8]
	v_add3_u32 v2, v4, v2, v3
                                        ; implicit-def: $vgpr53
                                        ; implicit-def: $vgpr54
	s_and_saveexec_b64 s[4:5], s[0:1]
	s_xor_b64 s[0:1], exec, s[4:5]
; %bb.10:
	v_or_b32_e32 v53, 32, v50
	v_or_b32_e32 v54, 64, v50
; %bb.11:
	s_or_saveexec_b64 s[4:5], s[0:1]
	v_lshlrev_b64 v[48:49], 4, v[1:2]
                                        ; implicit-def: $vgpr34_vgpr35
                                        ; implicit-def: $vgpr42_vgpr43
                                        ; implicit-def: $vgpr26_vgpr27
                                        ; implicit-def: $vgpr2_vgpr3
                                        ; implicit-def: $vgpr10_vgpr11
                                        ; implicit-def: $vgpr18_vgpr19
                                        ; implicit-def: $vgpr6_vgpr7
                                        ; implicit-def: $vgpr22_vgpr23
                                        ; implicit-def: $vgpr14_vgpr15
                                        ; implicit-def: $vgpr38_vgpr39
                                        ; implicit-def: $vgpr46_vgpr47
                                        ; implicit-def: $vgpr30_vgpr31
	s_xor_b64 exec, exec, s[4:5]
	s_cbranch_execz .LBB0_13
; %bb.12:
	v_mad_u64_u32 v[0:1], s[0:1], s2, v50, 0
	v_mov_b32_e32 v4, s13
	v_or_b32_e32 v6, 0x80, v50
	v_mad_u64_u32 v[1:2], s[0:1], s3, v50, v[1:2]
	v_mad_u64_u32 v[2:3], s[0:1], s2, v51, 0
	v_add_co_u32_e64 v8, s[0:1], s12, v48
	v_addc_co_u32_e64 v9, s[0:1], v4, v49, s[0:1]
	v_mad_u64_u32 v[3:4], s[0:1], s3, v51, v[3:4]
	v_mad_u64_u32 v[4:5], s[0:1], s2, v6, 0
	v_lshlrev_b64 v[0:1], 4, v[0:1]
	v_add_co_u32_e64 v53, s[0:1], v8, v0
	v_addc_co_u32_e64 v54, s[0:1], v9, v1, s[0:1]
	v_lshlrev_b64 v[0:1], 4, v[2:3]
	v_mov_b32_e32 v2, v5
	v_mad_u64_u32 v[2:3], s[0:1], s3, v6, v[2:3]
	v_or_b32_e32 v3, 0xc0, v50
	v_mad_u64_u32 v[6:7], s[0:1], s2, v3, 0
	v_add_co_u32_e64 v56, s[0:1], v8, v0
	v_mov_b32_e32 v5, v2
	v_mov_b32_e32 v2, v7
	v_addc_co_u32_e64 v57, s[0:1], v9, v1, s[0:1]
	v_lshlrev_b64 v[0:1], 4, v[4:5]
	v_mad_u64_u32 v[2:3], s[0:1], s3, v3, v[2:3]
	v_or_b32_e32 v5, 0x100, v50
	v_mad_u64_u32 v[3:4], s[0:1], s2, v5, 0
	v_add_co_u32_e64 v58, s[0:1], v8, v0
	v_mov_b32_e32 v7, v2
	v_mov_b32_e32 v2, v4
	v_addc_co_u32_e64 v59, s[0:1], v9, v1, s[0:1]
	v_lshlrev_b64 v[0:1], 4, v[6:7]
	v_mad_u64_u32 v[4:5], s[0:1], s3, v5, v[2:3]
	v_or_b32_e32 v7, 0x140, v50
	v_mad_u64_u32 v[5:6], s[0:1], s2, v7, 0
	v_add_co_u32_e64 v60, s[0:1], v8, v0
	v_mov_b32_e32 v2, v6
	v_addc_co_u32_e64 v61, s[0:1], v9, v1, s[0:1]
	v_lshlrev_b64 v[0:1], 4, v[3:4]
	v_mad_u64_u32 v[2:3], s[0:1], s3, v7, v[2:3]
	v_mad_u64_u32 v[3:4], s[0:1], s2, v52, 0
	v_add_co_u32_e64 v62, s[0:1], v8, v0
	v_mov_b32_e32 v6, v2
	v_mov_b32_e32 v2, v4
	v_addc_co_u32_e64 v63, s[0:1], v9, v1, s[0:1]
	v_lshlrev_b64 v[0:1], 4, v[5:6]
	v_mad_u64_u32 v[4:5], s[0:1], s3, v52, v[2:3]
	v_or_b32_e32 v7, 0x60, v50
	v_mad_u64_u32 v[5:6], s[0:1], s2, v7, 0
	v_add_co_u32_e64 v64, s[0:1], v8, v0
	v_mov_b32_e32 v2, v6
	v_addc_co_u32_e64 v65, s[0:1], v9, v1, s[0:1]
	v_lshlrev_b64 v[0:1], 4, v[3:4]
	v_mad_u64_u32 v[2:3], s[0:1], s3, v7, v[2:3]
	v_or_b32_e32 v7, 0xa0, v50
	v_mad_u64_u32 v[3:4], s[0:1], s2, v7, 0
	v_add_co_u32_e64 v66, s[0:1], v8, v0
	v_mov_b32_e32 v6, v2
	v_mov_b32_e32 v2, v4
	v_addc_co_u32_e64 v67, s[0:1], v9, v1, s[0:1]
	v_lshlrev_b64 v[0:1], 4, v[5:6]
	v_mad_u64_u32 v[4:5], s[0:1], s3, v7, v[2:3]
	v_or_b32_e32 v7, 0xe0, v50
	v_mad_u64_u32 v[5:6], s[0:1], s2, v7, 0
	v_add_co_u32_e64 v68, s[0:1], v8, v0
	v_mov_b32_e32 v2, v6
	v_addc_co_u32_e64 v69, s[0:1], v9, v1, s[0:1]
	v_lshlrev_b64 v[0:1], 4, v[3:4]
	v_mad_u64_u32 v[2:3], s[0:1], s3, v7, v[2:3]
	v_or_b32_e32 v7, 0x120, v50
	v_mad_u64_u32 v[3:4], s[0:1], s2, v7, 0
	v_add_co_u32_e64 v70, s[0:1], v8, v0
	v_mov_b32_e32 v6, v2
	v_mov_b32_e32 v2, v4
	v_addc_co_u32_e64 v71, s[0:1], v9, v1, s[0:1]
	v_lshlrev_b64 v[0:1], 4, v[5:6]
	v_mad_u64_u32 v[4:5], s[0:1], s3, v7, v[2:3]
	v_or_b32_e32 v7, 0x160, v50
	v_mad_u64_u32 v[5:6], s[0:1], s2, v7, 0
	v_add_co_u32_e64 v72, s[0:1], v8, v0
	v_mov_b32_e32 v2, v6
	v_addc_co_u32_e64 v73, s[0:1], v9, v1, s[0:1]
	v_lshlrev_b64 v[0:1], 4, v[3:4]
	v_mad_u64_u32 v[2:3], s[0:1], s3, v7, v[2:3]
	v_add_co_u32_e64 v74, s[0:1], v8, v0
	v_mov_b32_e32 v6, v2
	v_addc_co_u32_e64 v75, s[0:1], v9, v1, s[0:1]
	v_lshlrev_b64 v[0:1], 4, v[5:6]
	v_add_co_u32_e64 v76, s[0:1], v8, v0
	v_addc_co_u32_e64 v77, s[0:1], v9, v1, s[0:1]
	global_load_dwordx4 v[28:31], v[53:54], off
	global_load_dwordx4 v[32:35], v[56:57], off
	;; [unrolled: 1-line block ×12, first 2 shown]
	v_mov_b32_e32 v54, v51
	v_mov_b32_e32 v53, v52
.LBB0_13:
	s_or_b64 exec, exec, s[4:5]
	s_waitcnt vmcnt(6)
	v_add_f64 v[56:57], v[24:25], v[44:45]
	v_add_f64 v[66:67], v[26:27], v[46:47]
	v_add_f64 v[68:69], v[46:47], -v[26:27]
	s_mov_b32 s0, 0xe8584caa
	s_mov_b32 s1, 0x3febb67a
	;; [unrolled: 1-line block ×4, first 2 shown]
	v_add_f64 v[58:59], v[40:41], v[28:29]
	v_fma_f64 v[56:57], v[56:57], -0.5, v[32:33]
	v_add_f64 v[60:61], v[42:43], v[30:31]
	v_add_f64 v[62:63], v[40:41], v[36:37]
	;; [unrolled: 1-line block ×5, first 2 shown]
	v_add_f64 v[44:45], v[44:45], -v[24:25]
	v_fma_f64 v[34:35], v[66:67], -0.5, v[34:35]
	v_fma_f64 v[66:67], v[68:69], s[0:1], v[56:57]
	v_fma_f64 v[56:57], v[68:69], s[4:5], v[56:57]
	v_add_f64 v[42:43], v[42:43], -v[38:39]
	v_add_f64 v[40:41], v[40:41], -v[36:37]
	v_add_f64 v[36:37], v[36:37], v[58:59]
	v_add_f64 v[58:59], v[38:39], v[60:61]
	v_fma_f64 v[28:29], v[62:63], -0.5, v[28:29]
	v_fma_f64 v[38:39], v[44:45], s[4:5], v[34:35]
	v_mul_f64 v[60:61], v[66:67], 0.5
	v_fma_f64 v[62:63], v[64:65], -0.5, v[30:31]
	v_fma_f64 v[30:31], v[44:45], s[0:1], v[34:35]
	v_mul_f64 v[34:35], v[56:57], -0.5
	v_add_f64 v[32:33], v[24:25], v[32:33]
	v_add_f64 v[44:45], v[26:27], v[46:47]
	v_fma_f64 v[46:47], v[42:43], s[0:1], v[28:29]
	v_mul_f64 v[26:27], v[66:67], s[4:5]
	v_fma_f64 v[60:61], v[38:39], s[0:1], v[60:61]
	v_fma_f64 v[42:43], v[42:43], s[4:5], v[28:29]
	v_mul_f64 v[28:29], v[30:31], -0.5
	v_fma_f64 v[34:35], v[30:31], s[0:1], v[34:35]
	s_waitcnt vmcnt(0)
	v_add_f64 v[68:69], v[8:9], v[4:5]
	v_add_f64 v[24:25], v[32:33], v[36:37]
	v_add_f64 v[30:31], v[36:37], -v[32:33]
	v_fma_f64 v[64:65], v[40:41], s[4:5], v[62:63]
	v_fma_f64 v[66:67], v[38:39], 0.5, v[26:27]
	v_add_f64 v[26:27], v[46:47], v[60:61]
	v_fma_f64 v[62:63], v[40:41], s[0:1], v[62:63]
	v_fma_f64 v[56:57], v[56:57], s[4:5], v[28:29]
	v_add_f64 v[28:29], v[42:43], v[34:35]
	v_add_f64 v[32:33], v[46:47], -v[60:61]
	v_add_f64 v[34:35], v[42:43], -v[34:35]
	v_add_f64 v[36:37], v[44:45], v[58:59]
	v_add_f64 v[42:43], v[58:59], -v[44:45]
	v_add_f64 v[58:59], v[10:11], v[6:7]
	v_fma_f64 v[60:61], v[68:69], -0.5, v[12:13]
	v_add_f64 v[68:69], v[10:11], -v[6:7]
	v_add_f64 v[38:39], v[64:65], v[66:67]
	v_add_f64 v[40:41], v[62:63], v[56:57]
	v_add_f64 v[44:45], v[64:65], -v[66:67]
	v_add_f64 v[46:47], v[62:63], -v[56:57]
	v_add_f64 v[62:63], v[16:17], v[20:21]
	v_fma_f64 v[58:59], v[58:59], -0.5, v[14:15]
	v_add_f64 v[66:67], v[8:9], -v[4:5]
	v_fma_f64 v[70:71], v[68:69], s[0:1], v[60:61]
	v_add_f64 v[8:9], v[8:9], v[12:13]
	v_fma_f64 v[12:13], v[68:69], s[4:5], v[60:61]
	v_add_f64 v[56:57], v[0:1], v[20:21]
	v_add_f64 v[64:65], v[2:3], v[22:23]
	v_add_f64 v[72:73], v[18:19], v[22:23]
	v_fma_f64 v[0:1], v[62:63], -0.5, v[0:1]
	v_fma_f64 v[60:61], v[66:67], s[4:5], v[58:59]
	v_mul_f64 v[62:63], v[70:71], 0.5
	v_add_f64 v[22:23], v[22:23], -v[18:19]
	v_add_f64 v[10:11], v[10:11], v[14:15]
	v_fma_f64 v[14:15], v[66:67], s[0:1], v[58:59]
	v_add_f64 v[8:9], v[4:5], v[8:9]
	v_mul_f64 v[4:5], v[12:13], -0.5
	v_add_f64 v[20:21], v[20:21], -v[16:17]
	v_add_f64 v[18:19], v[18:19], v[64:65]
	v_fma_f64 v[58:59], v[60:61], s[0:1], v[62:63]
	v_mul_f64 v[62:63], v[70:71], s[4:5]
	v_fma_f64 v[64:65], v[72:73], -0.5, v[2:3]
	v_add_f64 v[16:17], v[16:17], v[56:57]
	v_fma_f64 v[56:57], v[22:23], s[0:1], v[0:1]
	v_add_f64 v[66:67], v[6:7], v[10:11]
	v_mul_f64 v[6:7], v[14:15], -0.5
	v_fma_f64 v[22:23], v[22:23], s[4:5], v[0:1]
	v_fma_f64 v[14:15], v[14:15], s[0:1], v[4:5]
	v_fma_f64 v[60:61], v[60:61], 0.5, v[62:63]
	v_fma_f64 v[62:63], v[20:21], s[4:5], v[64:65]
	v_add_f64 v[1:2], v[16:17], v[8:9]
	v_add_f64 v[3:4], v[56:57], v[58:59]
	v_fma_f64 v[64:65], v[20:21], s[0:1], v[64:65]
	v_fma_f64 v[68:69], v[12:13], s[4:5], v[6:7]
	v_add_f64 v[7:8], v[16:17], -v[8:9]
	v_add_f64 v[5:6], v[22:23], v[14:15]
	v_add_f64 v[9:10], v[56:57], -v[58:59]
	v_add_f64 v[11:12], v[22:23], -v[14:15]
	v_mul_u32_u24_e32 v0, 0x180, v55
	v_mul_u32_u24_e32 v21, 6, v50
	v_lshl_add_u32 v0, v0, 3, 0
	v_lshl_add_u32 v55, v21, 3, v0
	v_mul_i32_i24_e32 v21, 6, v53
	v_add_f64 v[13:14], v[18:19], v[66:67]
	v_add_f64 v[15:16], v[62:63], v[60:61]
	ds_write_b128 v55, v[24:27]
	ds_write_b128 v55, v[28:31] offset:16
	ds_write_b128 v55, v[32:35] offset:32
	v_lshl_add_u32 v25, v21, 3, v0
	v_add_f64 v[19:20], v[18:19], -v[66:67]
	v_add_f64 v[17:18], v[64:65], v[68:69]
	ds_write_b128 v25, v[1:4]
	ds_write_b128 v25, v[5:8] offset:16
	ds_write_b128 v25, v[9:12] offset:32
	v_mul_lo_u16_e32 v77, 43, v50
	v_mov_b32_e32 v1, 6
	v_add_f64 v[56:57], v[62:63], -v[60:61]
	v_add_f64 v[58:59], v[64:65], -v[68:69]
	v_mul_lo_u16_sdwa v1, v77, v1 dst_sel:DWORD dst_unused:UNUSED_PAD src0_sel:BYTE_1 src1_sel:DWORD
	s_movk_i32 s0, 0xffd8
	v_sub_u16_e32 v78, v50, v1
	v_lshl_add_u32 v26, v50, 3, v0
	v_mad_i32_i24 v27, v50, s0, v55
	v_mad_i32_i24 v30, v53, s0, v25
	v_lshl_add_u32 v29, v54, 3, v0
	v_mul_lo_u16_e32 v1, 3, v78
	v_mov_b32_e32 v10, 4
	s_movk_i32 s0, 0xab
	s_waitcnt lgkmcnt(0)
	s_barrier
	ds_read_b64 v[63:64], v26
	ds_read2_b64 v[2:5], v27 offset0:96 offset1:128
	ds_read2_b64 v[6:9], v27 offset0:160 offset1:192
	v_add_u32_e32 v28, 0x800, v27
	v_add_u32_e32 v31, 0x400, v27
	ds_read_b64 v[65:66], v29
	ds_read_b64 v[67:68], v30
	ds_read_b64 v[69:70], v27 offset:2816
	ds_read2_b64 v[21:24], v28 offset0:32 offset1:64
	ds_read2_b64 v[32:35], v31 offset0:96 offset1:128
	s_waitcnt lgkmcnt(0)
	s_barrier
	ds_write_b128 v55, v[36:39]
	ds_write_b128 v55, v[40:43] offset:16
	ds_write_b128 v55, v[44:47] offset:32
	ds_write_b128 v25, v[13:16]
	ds_write_b128 v25, v[17:20] offset:16
	ds_write_b128 v25, v[56:59] offset:32
	v_lshlrev_b32_sdwa v18, v10, v1 dst_sel:DWORD dst_unused:UNUSED_PAD src0_sel:DWORD src1_sel:BYTE_0
	v_mul_lo_u16_sdwa v79, v53, s0 dst_sel:DWORD dst_unused:UNUSED_PAD src0_sel:BYTE_0 src1_sel:DWORD
	s_waitcnt lgkmcnt(0)
	s_barrier
	global_load_dwordx4 v[10:13], v18, s[8:9]
	v_lshrrev_b16_e32 v80, 10, v79
	v_mul_lo_u16_e32 v1, 6, v80
	v_sub_u16_e32 v81, v53, v1
	v_mov_b32_e32 v1, 3
	v_mul_u32_u24_sdwa v14, v81, v1 dst_sel:DWORD dst_unused:UNUSED_PAD src0_sel:BYTE_0 src1_sel:DWORD
	v_lshlrev_b32_e32 v20, 4, v14
	global_load_dwordx4 v[14:17], v20, s[8:9]
	global_load_dwordx4 v[36:39], v18, s[8:9] offset:32
	global_load_dwordx4 v[40:43], v20, s[8:9] offset:32
	v_mul_lo_u16_sdwa v82, v54, s0 dst_sel:DWORD dst_unused:UNUSED_PAD src0_sel:BYTE_0 src1_sel:DWORD
	ds_read2_b64 v[44:47], v27 offset0:96 offset1:128
	global_load_dwordx4 v[55:58], v18, s[8:9] offset:16
	v_lshrrev_b16_e32 v83, 10, v82
	v_mul_lo_u16_e32 v25, 6, v83
	v_sub_u16_e32 v84, v54, v25
	v_mul_u32_u24_sdwa v25, v84, v1 dst_sel:DWORD dst_unused:UNUSED_PAD src0_sel:BYTE_0 src1_sel:DWORD
	v_lshlrev_b32_e32 v25, 4, v25
	global_load_dwordx4 v[59:62], v25, s[8:9]
	v_cmp_gt_u32_e64 s[0:1], 24, v50
	s_waitcnt vmcnt(5) lgkmcnt(0)
	v_mul_f64 v[18:19], v[44:45], v[12:13]
	v_mul_f64 v[12:13], v[2:3], v[12:13]
	s_waitcnt vmcnt(4)
	v_mul_f64 v[71:72], v[46:47], v[16:17]
	v_fma_f64 v[73:74], v[2:3], v[10:11], -v[18:19]
	v_fma_f64 v[44:45], v[44:45], v[10:11], v[12:13]
	v_mul_f64 v[10:11], v[4:5], v[16:17]
	s_waitcnt vmcnt(3)
	v_mul_f64 v[18:19], v[21:22], v[38:39]
	v_fma_f64 v[71:72], v[4:5], v[14:15], -v[71:72]
	ds_read2_b64 v[2:5], v28 offset0:32 offset1:64
	v_fma_f64 v[46:47], v[46:47], v[14:15], v[10:11]
	s_waitcnt lgkmcnt(0)
	v_mul_f64 v[16:17], v[2:3], v[38:39]
	global_load_dwordx4 v[10:13], v20, s[8:9] offset:16
	v_fma_f64 v[38:39], v[21:22], v[36:37], -v[16:17]
	global_load_dwordx4 v[14:17], v25, s[8:9] offset:16
	v_fma_f64 v[36:37], v[2:3], v[36:37], v[18:19]
	global_load_dwordx4 v[18:21], v25, s[8:9] offset:32
	s_waitcnt vmcnt(5)
	v_mul_f64 v[2:3], v[4:5], v[42:43]
	v_add_f64 v[36:37], v[44:45], -v[36:37]
	v_fma_f64 v[75:76], v[23:24], v[40:41], -v[2:3]
	v_mul_f64 v[2:3], v[23:24], v[42:43]
	v_fma_f64 v[22:23], v[4:5], v[40:41], v[2:3]
	ds_read2_b64 v[2:5], v27 offset0:160 offset1:192
	s_waitcnt vmcnt(4)
	v_mul_f64 v[40:41], v[8:9], v[57:58]
	s_waitcnt lgkmcnt(0)
	v_mul_f64 v[24:25], v[4:5], v[57:58]
	v_add_f64 v[22:23], v[46:47], -v[22:23]
	v_fma_f64 v[8:9], v[8:9], v[55:56], -v[24:25]
	v_fma_f64 v[24:25], v[4:5], v[55:56], v[40:41]
	s_waitcnt vmcnt(3)
	v_mul_f64 v[4:5], v[2:3], v[61:62]
	v_mul_f64 v[40:41], v[6:7], v[61:62]
	v_mov_b32_e32 v61, 24
	v_add_f64 v[8:9], v[63:64], -v[8:9]
	v_fma_f64 v[42:43], v[6:7], v[59:60], -v[4:5]
	ds_read2_b64 v[4:7], v31 offset0:96 offset1:128
	v_fma_f64 v[2:3], v[2:3], v[59:60], v[40:41]
	v_add_f64 v[59:60], v[8:9], -v[36:37]
	v_fma_f64 v[36:37], v[44:45], 2.0, -v[36:37]
	v_mul_u32_u24_e32 v44, 24, v80
	s_waitcnt vmcnt(2) lgkmcnt(0)
	v_mul_f64 v[40:41], v[4:5], v[12:13]
	v_mul_f64 v[12:13], v[32:33], v[12:13]
	s_waitcnt vmcnt(1)
	v_mul_f64 v[55:56], v[6:7], v[16:17]
	v_fma_f64 v[32:33], v[32:33], v[10:11], -v[40:41]
	v_fma_f64 v[4:5], v[4:5], v[10:11], v[12:13]
	v_add_f64 v[10:11], v[73:74], -v[38:39]
	ds_read_b64 v[12:13], v27 offset:2816
	v_mul_f64 v[16:17], v[34:35], v[16:17]
	v_fma_f64 v[40:41], v[63:64], 2.0, -v[8:9]
	v_fma_f64 v[8:9], v[8:9], 2.0, -v[59:60]
	v_fma_f64 v[34:35], v[34:35], v[14:15], -v[55:56]
	s_waitcnt vmcnt(0) lgkmcnt(0)
	v_mul_f64 v[38:39], v[12:13], v[20:21]
	v_mul_f64 v[20:21], v[69:70], v[20:21]
	v_fma_f64 v[55:56], v[73:74], 2.0, -v[10:11]
	v_fma_f64 v[6:7], v[6:7], v[14:15], v[16:17]
	ds_read_b64 v[14:15], v30
	ds_read_b64 v[16:17], v26
	;; [unrolled: 1-line block ×3, first 2 shown]
	v_add_f64 v[34:35], v[65:66], -v[34:35]
	v_fma_f64 v[38:39], v[69:70], v[18:19], -v[38:39]
	v_fma_f64 v[12:13], v[12:13], v[18:19], v[20:21]
	v_add_f64 v[55:56], v[40:41], -v[55:56]
	v_add_f64 v[18:19], v[67:68], -v[32:33]
	;; [unrolled: 1-line block ×3, first 2 shown]
	v_mul_lo_u16_sdwa v32, v77, v61 dst_sel:DWORD dst_unused:UNUSED_PAD src0_sel:BYTE_1 src1_sel:DWORD
	v_or_b32_e32 v63, v32, v78
	v_and_b32_e32 v63, 0xff, v63
	v_add_f64 v[38:39], v[42:43], -v[38:39]
	v_add_f64 v[12:13], v[2:3], -v[12:13]
	v_fma_f64 v[32:33], v[40:41], 2.0, -v[55:56]
	v_fma_f64 v[40:41], v[67:68], 2.0, -v[18:19]
	;; [unrolled: 1-line block ×3, first 2 shown]
	s_waitcnt lgkmcnt(1)
	v_add_f64 v[24:25], v[16:17], -v[24:25]
	v_lshl_add_u32 v71, v63, 3, v0
	v_fma_f64 v[65:66], v[65:66], 2.0, -v[34:35]
	v_fma_f64 v[42:43], v[42:43], 2.0, -v[38:39]
	s_waitcnt lgkmcnt(0)
	s_barrier
	v_add_f64 v[61:62], v[40:41], -v[61:62]
	v_add_f64 v[63:64], v[18:19], -v[22:23]
	ds_write2_b64 v71, v[32:33], v[8:9] offset1:6
	ds_write2_b64 v71, v[55:56], v[59:60] offset0:12 offset1:18
	v_fma_f64 v[16:17], v[16:17], 2.0, -v[24:25]
	v_add_f64 v[32:33], v[65:66], -v[42:43]
	v_add_f64 v[42:43], v[24:25], v[10:11]
	v_or_b32_sdwa v10, v44, v81 dst_sel:DWORD dst_unused:UNUSED_PAD src0_sel:DWORD src1_sel:BYTE_0
	v_lshl_add_u32 v55, v10, 3, v0
	v_fma_f64 v[8:9], v[40:41], 2.0, -v[61:62]
	v_add_f64 v[40:41], v[34:35], -v[12:13]
	v_fma_f64 v[18:19], v[18:19], 2.0, -v[63:64]
	v_add_f64 v[44:45], v[57:58], -v[6:7]
	ds_write2_b64 v55, v[8:9], v[18:19] offset1:6
	ds_write2_b64 v55, v[61:62], v[63:64] offset0:12 offset1:18
	v_fma_f64 v[10:11], v[34:35], 2.0, -v[40:41]
	v_add_f64 v[34:35], v[14:15], -v[4:5]
	v_fma_f64 v[8:9], v[65:66], 2.0, -v[32:33]
	v_fma_f64 v[4:5], v[46:47], 2.0, -v[22:23]
	;; [unrolled: 1-line block ×4, first 2 shown]
	v_mul_u32_u24_e32 v18, 24, v83
	v_add_f64 v[36:37], v[16:17], -v[36:37]
	v_or_b32_sdwa v18, v18, v84 dst_sel:DWORD dst_unused:UNUSED_PAD src0_sel:DWORD src1_sel:BYTE_0
	v_fma_f64 v[14:15], v[14:15], 2.0, -v[34:35]
	v_lshl_add_u32 v56, v18, 3, v0
	ds_write2_b64 v56, v[8:9], v[10:11] offset1:6
	ds_write2_b64 v56, v[32:33], v[40:41] offset0:12 offset1:18
	v_add_f64 v[40:41], v[34:35], v[20:21]
	v_add_f64 v[46:47], v[22:23], -v[2:3]
	v_add_f64 v[38:39], v[44:45], v[38:39]
	v_fma_f64 v[16:17], v[16:17], 2.0, -v[36:37]
	v_fma_f64 v[24:25], v[24:25], 2.0, -v[42:43]
	v_add_f64 v[32:33], v[14:15], -v[4:5]
	s_waitcnt lgkmcnt(0)
	s_barrier
	v_fma_f64 v[34:35], v[34:35], 2.0, -v[40:41]
	v_fma_f64 v[22:23], v[22:23], 2.0, -v[46:47]
	;; [unrolled: 1-line block ×3, first 2 shown]
	ds_read_b64 v[63:64], v26
	ds_read_b64 v[65:66], v29
	;; [unrolled: 1-line block ×3, first 2 shown]
	ds_read_b64 v[69:70], v27 offset:2816
	v_fma_f64 v[14:15], v[14:15], 2.0, -v[32:33]
	ds_read2_b64 v[2:5], v27 offset0:96 offset1:128
	ds_read2_b64 v[6:9], v27 offset0:160 offset1:192
	;; [unrolled: 1-line block ×4, first 2 shown]
	s_waitcnt lgkmcnt(0)
	s_barrier
	ds_write2_b64 v71, v[16:17], v[24:25] offset1:6
	ds_write2_b64 v71, v[36:37], v[42:43] offset0:12 offset1:18
	ds_write2_b64 v55, v[14:15], v[34:35] offset1:6
	ds_write2_b64 v55, v[32:33], v[40:41] offset0:12 offset1:18
	;; [unrolled: 2-line block ×3, first 2 shown]
	v_subrev_u32_e32 v14, 24, v50
	v_cndmask_b32_e64 v77, v14, v50, s[0:1]
	v_mul_i32_i24_e32 v16, 3, v77
	v_mov_b32_e32 v17, 0
	v_lshlrev_b64 v[14:15], 4, v[16:17]
	v_mov_b32_e32 v16, s9
	v_add_co_u32_e64 v14, s[0:1], s8, v14
	v_addc_co_u32_e64 v15, s[0:1], v16, v15, s[0:1]
	v_lshrrev_b16_e32 v16, 12, v79
	v_mul_lo_u16_e32 v32, 24, v16
	v_sub_u16_e32 v78, v53, v32
	s_waitcnt lgkmcnt(0)
	s_barrier
	global_load_dwordx4 v[22:25], v[14:15], off offset:288
	v_mul_u32_u24_sdwa v32, v78, v1 dst_sel:DWORD dst_unused:UNUSED_PAD src0_sel:BYTE_0 src1_sel:DWORD
	v_lshlrev_b32_e32 v73, 4, v32
	global_load_dwordx4 v[32:35], v73, s[8:9] offset:288
	global_load_dwordx4 v[36:39], v[14:15], off offset:320
	global_load_dwordx4 v[40:43], v73, s[8:9] offset:320
	v_lshrrev_b16_e32 v79, 12, v82
	global_load_dwordx4 v[55:58], v[14:15], off offset:304
	v_mul_lo_u16_e32 v14, 24, v79
	v_sub_u16_e32 v80, v54, v14
	v_mul_u32_u24_sdwa v1, v80, v1 dst_sel:DWORD dst_unused:UNUSED_PAD src0_sel:BYTE_0 src1_sel:DWORD
	v_lshlrev_b32_e32 v75, 4, v1
	ds_read2_b64 v[44:47], v27 offset0:96 offset1:128
	global_load_dwordx4 v[59:62], v75, s[8:9] offset:288
	v_cmp_lt_u32_e64 s[0:1], 23, v50
	s_waitcnt vmcnt(5) lgkmcnt(0)
	v_mul_f64 v[14:15], v[44:45], v[24:25]
	v_mul_f64 v[24:25], v[2:3], v[24:25]
	s_waitcnt vmcnt(4)
	v_mul_f64 v[71:72], v[46:47], v[34:35]
	v_mul_f64 v[34:35], v[4:5], v[34:35]
	v_fma_f64 v[14:15], v[2:3], v[22:23], -v[14:15]
	v_fma_f64 v[44:45], v[44:45], v[22:23], v[24:25]
	global_load_dwordx4 v[22:25], v73, s[8:9] offset:304
	v_fma_f64 v[71:72], v[4:5], v[32:33], -v[71:72]
	ds_read2_b64 v[1:4], v28 offset0:32 offset1:64
	v_fma_f64 v[46:47], v[46:47], v[32:33], v[34:35]
	global_load_dwordx4 v[32:35], v75, s[8:9] offset:304
	s_waitcnt vmcnt(5) lgkmcnt(0)
	v_mul_f64 v[73:74], v[1:2], v[38:39]
	v_mul_f64 v[38:39], v[10:11], v[38:39]
	v_fma_f64 v[10:11], v[10:11], v[36:37], -v[73:74]
	v_fma_f64 v[73:74], v[1:2], v[36:37], v[38:39]
	global_load_dwordx4 v[36:39], v75, s[8:9] offset:320
	s_waitcnt vmcnt(5)
	v_mul_f64 v[1:2], v[3:4], v[42:43]
	v_fma_f64 v[75:76], v[12:13], v[40:41], -v[1:2]
	v_mul_f64 v[1:2], v[12:13], v[42:43]
	s_waitcnt vmcnt(4)
	v_mul_f64 v[42:43], v[8:9], v[57:58]
	v_fma_f64 v[12:13], v[3:4], v[40:41], v[1:2]
	ds_read2_b64 v[1:4], v27 offset0:160 offset1:192
	s_waitcnt lgkmcnt(0)
	v_mul_f64 v[40:41], v[3:4], v[57:58]
	s_waitcnt vmcnt(3)
	v_mul_f64 v[57:58], v[1:2], v[61:62]
	v_fma_f64 v[8:9], v[8:9], v[55:56], -v[40:41]
	v_fma_f64 v[40:41], v[3:4], v[55:56], v[42:43]
	v_mul_f64 v[42:43], v[6:7], v[61:62]
	v_fma_f64 v[55:56], v[6:7], v[59:60], -v[57:58]
	ds_read2_b64 v[3:6], v31 offset0:96 offset1:128
	v_add_f64 v[61:62], v[44:45], -v[73:74]
	v_add_f64 v[7:8], v[63:64], -v[8:9]
	;; [unrolled: 1-line block ×3, first 2 shown]
	v_fma_f64 v[1:2], v[1:2], v[59:60], v[42:43]
	v_mov_b32_e32 v11, 0x60
	v_cndmask_b32_e64 v11, 0, v11, s[0:1]
	v_fma_f64 v[44:45], v[44:45], 2.0, -v[61:62]
	v_fma_f64 v[59:60], v[63:64], 2.0, -v[7:8]
	;; [unrolled: 1-line block ×3, first 2 shown]
	v_add_f64 v[14:15], v[59:60], -v[14:15]
	s_waitcnt vmcnt(2) lgkmcnt(0)
	v_mul_f64 v[42:43], v[3:4], v[24:25]
	v_mul_f64 v[24:25], v[18:19], v[24:25]
	s_waitcnt vmcnt(1)
	v_mul_f64 v[57:58], v[5:6], v[34:35]
	v_fma_f64 v[18:19], v[18:19], v[22:23], -v[42:43]
	v_fma_f64 v[3:4], v[3:4], v[22:23], v[24:25]
	ds_read_b64 v[22:23], v27 offset:2816
	v_fma_f64 v[24:25], v[20:21], v[32:33], -v[57:58]
	v_mul_f64 v[20:21], v[20:21], v[34:35]
	ds_read_b64 v[34:35], v30
	ds_read_b64 v[42:43], v26
	v_add_f64 v[18:19], v[67:68], -v[18:19]
	s_waitcnt vmcnt(0) lgkmcnt(2)
	v_mul_f64 v[57:58], v[22:23], v[38:39]
	v_mul_f64 v[38:39], v[69:70], v[38:39]
	s_waitcnt lgkmcnt(0)
	v_add_f64 v[40:41], v[42:43], -v[40:41]
	v_add_f64 v[24:25], v[65:66], -v[24:25]
	v_fma_f64 v[5:6], v[5:6], v[32:33], v[20:21]
	ds_read_b64 v[20:21], v29
	s_waitcnt lgkmcnt(0)
	s_barrier
	v_fma_f64 v[32:33], v[69:70], v[36:37], -v[57:58]
	v_fma_f64 v[22:23], v[22:23], v[36:37], v[38:39]
	v_add_f64 v[38:39], v[71:72], -v[75:76]
	v_add_f64 v[36:37], v[7:8], -v[61:62]
	v_or_b32_e32 v69, v11, v77
	v_fma_f64 v[57:58], v[59:60], 2.0, -v[14:15]
	v_fma_f64 v[59:60], v[67:68], 2.0, -v[18:19]
	v_add_f64 v[11:12], v[46:47], -v[12:13]
	v_add_f64 v[32:33], v[55:56], -v[32:33]
	v_fma_f64 v[65:66], v[65:66], 2.0, -v[24:25]
	v_fma_f64 v[63:64], v[71:72], 2.0, -v[38:39]
	;; [unrolled: 1-line block ×3, first 2 shown]
	v_add_f64 v[22:23], v[1:2], -v[22:23]
	v_fma_f64 v[42:43], v[42:43], 2.0, -v[40:41]
	v_lshl_add_u32 v69, v69, 3, v0
	v_add_f64 v[67:68], v[18:19], -v[11:12]
	v_fma_f64 v[55:56], v[55:56], 2.0, -v[32:33]
	v_add_f64 v[63:64], v[59:60], -v[63:64]
	ds_write2_b64 v69, v[57:58], v[7:8] offset1:24
	ds_write2_b64 v69, v[14:15], v[36:37] offset0:48 offset1:72
	v_mul_u32_u24_e32 v57, 0x60, v16
	v_add_f64 v[36:37], v[42:43], -v[44:45]
	v_add_f64 v[44:45], v[40:41], v[9:10]
	v_fma_f64 v[13:14], v[18:19], 2.0, -v[67:68]
	v_add_f64 v[15:16], v[65:66], -v[55:56]
	v_add_f64 v[18:19], v[24:25], -v[22:23]
	v_fma_f64 v[7:8], v[59:60], 2.0, -v[63:64]
	v_or_b32_sdwa v9, v57, v78 dst_sel:DWORD dst_unused:UNUSED_PAD src0_sel:DWORD src1_sel:BYTE_0
	v_lshl_add_u32 v70, v9, 3, v0
	ds_write2_b64 v70, v[7:8], v[13:14] offset1:24
	ds_write2_b64 v70, v[63:64], v[67:68] offset0:48 offset1:72
	v_fma_f64 v[7:8], v[65:66], 2.0, -v[15:16]
	v_fma_f64 v[9:10], v[24:25], 2.0, -v[18:19]
	v_add_f64 v[55:56], v[34:35], -v[3:4]
	v_add_f64 v[57:58], v[20:21], -v[5:6]
	v_mul_u32_u24_e32 v3, 0x60, v79
	v_or_b32_sdwa v3, v3, v80 dst_sel:DWORD dst_unused:UNUSED_PAD src0_sel:DWORD src1_sel:BYTE_0
	v_lshl_add_u32 v63, v3, 3, v0
	ds_write2_b64 v63, v[7:8], v[9:10] offset1:24
	ds_write2_b64 v63, v[15:16], v[18:19] offset0:48 offset1:72
	v_fma_f64 v[8:9], v[46:47], 2.0, -v[11:12]
	v_fma_f64 v[34:35], v[34:35], 2.0, -v[55:56]
	;; [unrolled: 1-line block ×4, first 2 shown]
	v_add_f64 v[38:39], v[55:56], v[38:39]
	v_add_f64 v[32:33], v[57:58], v[32:33]
	s_waitcnt lgkmcnt(0)
	s_barrier
	v_add_f64 v[59:60], v[34:35], -v[8:9]
	ds_read_b64 v[20:21], v26
	ds_read2_b64 v[4:7], v27 offset0:96 offset1:128
	v_add_f64 v[61:62], v[46:47], -v[0:1]
	ds_read_b64 v[22:23], v29
	ds_read_b64 v[18:19], v30
	ds_read_b64 v[24:25], v27 offset:2816
	ds_read2_b64 v[12:15], v27 offset0:160 offset1:192
	ds_read2_b64 v[0:3], v28 offset0:32 offset1:64
	;; [unrolled: 1-line block ×3, first 2 shown]
	v_fma_f64 v[42:43], v[42:43], 2.0, -v[36:37]
	v_fma_f64 v[40:41], v[40:41], 2.0, -v[44:45]
	;; [unrolled: 1-line block ×5, first 2 shown]
	s_waitcnt lgkmcnt(0)
	v_fma_f64 v[46:47], v[46:47], 2.0, -v[61:62]
	s_barrier
	ds_write2_b64 v69, v[42:43], v[40:41] offset1:24
	ds_write2_b64 v69, v[36:37], v[44:45] offset0:48 offset1:72
	ds_write2_b64 v70, v[34:35], v[55:56] offset1:24
	ds_write2_b64 v70, v[59:60], v[38:39] offset0:48 offset1:72
	;; [unrolled: 2-line block ×3, first 2 shown]
	s_waitcnt lgkmcnt(0)
	s_barrier
	s_and_saveexec_b64 s[0:1], vcc
	s_cbranch_execz .LBB0_15
; %bb.14:
	v_mul_u32_u24_e32 v16, 3, v50
	v_lshlrev_b32_e32 v75, 4, v16
	global_load_dwordx4 v[32:35], v75, s[8:9] offset:1456
	v_mul_i32_i24_e32 v16, 3, v54
	v_lshlrev_b64 v[36:37], 4, v[16:17]
	v_mov_b32_e32 v44, s9
	v_add_co_u32_e32 v73, vcc, s8, v36
	v_addc_co_u32_e32 v74, vcc, v44, v37, vcc
	global_load_dwordx4 v[36:39], v[73:74], off offset:1440
	global_load_dwordx4 v[40:43], v[73:74], off offset:1456
	v_mul_i32_i24_e32 v16, 3, v53
	v_lshlrev_b64 v[16:17], 4, v[16:17]
	v_add_co_u32_e32 v16, vcc, s8, v16
	v_addc_co_u32_e32 v17, vcc, v44, v17, vcc
	global_load_dwordx4 v[44:47], v[16:17], off offset:1456
	global_load_dwordx4 v[53:56], v[73:74], off offset:1472
	global_load_dwordx4 v[57:60], v75, s[8:9] offset:1440
	global_load_dwordx4 v[61:64], v75, s[8:9] offset:1472
	global_load_dwordx4 v[65:68], v[16:17], off offset:1440
	global_load_dwordx4 v[69:72], v[16:17], off offset:1472
	ds_read2_b64 v[73:76], v27 offset0:160 offset1:192
	s_waitcnt vmcnt(8)
	v_mul_f64 v[16:17], v[14:15], v[34:35]
	s_waitcnt lgkmcnt(0)
	v_mul_f64 v[34:35], v[75:76], v[34:35]
	v_fma_f64 v[75:76], v[75:76], v[32:33], v[16:17]
	v_fma_f64 v[32:33], v[14:15], v[32:33], -v[34:35]
	s_waitcnt vmcnt(7)
	v_mul_f64 v[14:15], v[73:74], v[38:39]
	v_mul_f64 v[16:17], v[12:13], v[38:39]
	s_waitcnt vmcnt(6)
	v_mul_f64 v[38:39], v[10:11], v[42:43]
	v_add_f64 v[32:33], v[20:21], -v[32:33]
	v_fma_f64 v[34:35], v[12:13], v[36:37], -v[14:15]
	ds_read2_b64 v[12:15], v31 offset0:96 offset1:128
	v_fma_f64 v[36:37], v[36:37], v[73:74], v[16:17]
	ds_read_b64 v[73:74], v27 offset:2816
	ds_read_b64 v[30:31], v30
	ds_read_b64 v[77:78], v29
	ds_read_b64 v[79:80], v26
	s_waitcnt vmcnt(4) lgkmcnt(3)
	v_mul_f64 v[81:82], v[73:74], v[55:56]
	v_mul_f64 v[16:17], v[14:15], v[42:43]
	;; [unrolled: 1-line block ×4, first 2 shown]
	v_fma_f64 v[38:39], v[14:15], v[40:41], v[38:39]
	v_fma_f64 v[40:41], v[10:11], v[40:41], -v[16:17]
	v_fma_f64 v[42:43], v[12:13], v[44:45], v[42:43]
	ds_read2_b64 v[10:13], v27 offset0:96 offset1:128
	ds_read2_b64 v[14:17], v28 offset0:32 offset1:64
	v_mul_f64 v[26:27], v[24:25], v[55:56]
	v_fma_f64 v[8:9], v[8:9], v[44:45], -v[46:47]
	s_waitcnt vmcnt(3)
	v_mul_f64 v[44:45], v[4:5], v[59:60]
	s_waitcnt lgkmcnt(1)
	v_mul_f64 v[28:29], v[10:11], v[59:60]
	s_waitcnt vmcnt(2) lgkmcnt(0)
	v_mul_f64 v[46:47], v[14:15], v[63:64]
	v_mul_f64 v[55:56], v[0:1], v[63:64]
	v_fma_f64 v[24:25], v[24:25], v[53:54], -v[81:82]
	v_add_f64 v[38:39], v[77:78], -v[38:39]
	v_fma_f64 v[26:27], v[53:54], v[73:74], v[26:27]
	v_mad_u64_u32 v[53:54], s[0:1], s2, v50, 0
	v_fma_f64 v[4:5], v[4:5], v[57:58], -v[28:29]
	s_waitcnt vmcnt(1)
	v_mul_f64 v[28:29], v[12:13], v[67:68]
	v_fma_f64 v[10:11], v[57:58], v[10:11], v[44:45]
	v_mov_b32_e32 v44, v54
	v_mad_u64_u32 v[44:45], s[0:1], s3, v50, v[44:45]
	v_fma_f64 v[0:1], v[0:1], v[61:62], -v[46:47]
	v_fma_f64 v[14:15], v[61:62], v[14:15], v[55:56]
	s_waitcnt vmcnt(0)
	v_mul_f64 v[45:46], v[16:17], v[71:72]
	v_mul_f64 v[55:56], v[6:7], v[67:68]
	v_fma_f64 v[28:29], v[6:7], v[65:66], -v[28:29]
	v_mul_f64 v[6:7], v[2:3], v[71:72]
	v_mov_b32_e32 v54, v44
	v_add_f64 v[24:25], v[34:35], -v[24:25]
	v_add_f64 v[40:41], v[22:23], -v[40:41]
	;; [unrolled: 1-line block ×3, first 2 shown]
	v_fma_f64 v[2:3], v[2:3], v[69:70], -v[45:46]
	v_fma_f64 v[12:13], v[65:66], v[12:13], v[55:56]
	v_add_f64 v[44:45], v[4:5], -v[0:1]
	v_fma_f64 v[6:7], v[69:70], v[16:17], v[6:7]
	v_add_f64 v[16:17], v[79:80], -v[75:76]
	v_add_f64 v[42:43], v[30:31], -v[42:43]
	;; [unrolled: 1-line block ×3, first 2 shown]
	v_fma_f64 v[63:64], v[10:11], 2.0, -v[14:15]
	v_add_f64 v[46:47], v[28:29], -v[2:3]
	v_fma_f64 v[65:66], v[20:21], 2.0, -v[32:33]
	v_fma_f64 v[20:21], v[4:5], 2.0, -v[44:45]
	v_add_f64 v[59:60], v[12:13], -v[6:7]
	v_add_f64 v[2:3], v[16:17], v[44:45]
	v_fma_f64 v[61:62], v[79:80], 2.0, -v[16:17]
	v_add_f64 v[26:27], v[36:37], -v[26:27]
	v_add_f64 v[6:7], v[38:39], v[24:25]
	v_fma_f64 v[67:68], v[22:23], 2.0, -v[40:41]
	v_fma_f64 v[24:25], v[34:35], 2.0, -v[24:25]
	v_add_f64 v[0:1], v[32:33], -v[14:15]
	v_add_f64 v[8:9], v[55:56], -v[59:60]
	v_fma_f64 v[69:70], v[30:31], 2.0, -v[42:43]
	v_fma_f64 v[30:31], v[12:13], 2.0, -v[59:60]
	;; [unrolled: 1-line block ×4, first 2 shown]
	v_add_f64 v[18:19], v[61:62], -v[63:64]
	v_add_f64 v[16:17], v[65:66], -v[20:21]
	;; [unrolled: 1-line block ×4, first 2 shown]
	v_fma_f64 v[44:45], v[77:78], 2.0, -v[38:39]
	v_fma_f64 v[26:27], v[36:37], 2.0, -v[26:27]
	;; [unrolled: 1-line block ×3, first 2 shown]
	v_mov_b32_e32 v71, s13
	v_fma_f64 v[38:39], v[61:62], 2.0, -v[18:19]
	v_fma_f64 v[36:37], v[65:66], 2.0, -v[16:17]
	;; [unrolled: 1-line block ×4, first 2 shown]
	v_add_co_u32_e32 v55, vcc, s12, v48
	v_or_b32_e32 v72, 0x60, v50
	v_addc_co_u32_e32 v56, vcc, v71, v49, vcc
	v_lshlrev_b64 v[48:49], 4, v[53:54]
	v_mad_u64_u32 v[57:58], s[0:1], s2, v72, 0
	v_fma_f64 v[20:21], v[40:41], 2.0, -v[4:5]
	v_fma_f64 v[40:41], v[67:68], 2.0, -v[24:25]
	v_add_co_u32_e32 v48, vcc, v55, v48
	v_addc_co_u32_e32 v49, vcc, v56, v49, vcc
	global_store_dwordx4 v[48:49], v[36:39], off
	v_or_b32_e32 v48, 0xc0, v50
	v_mov_b32_e32 v53, v58
	v_mad_u64_u32 v[38:39], s[0:1], s2, v48, 0
	v_mad_u64_u32 v[53:54], s[0:1], s3, v72, v[53:54]
	;; [unrolled: 1-line block ×3, first 2 shown]
	v_mov_b32_e32 v58, v53
	v_or_b32_e32 v49, 0x120, v50
	v_lshlrev_b64 v[36:37], 4, v[57:58]
	v_mad_u64_u32 v[53:54], s[0:1], s2, v49, 0
	v_add_co_u32_e32 v36, vcc, v55, v36
	v_addc_co_u32_e32 v37, vcc, v56, v37, vcc
	v_fma_f64 v[28:29], v[28:29], 2.0, -v[46:47]
	global_store_dwordx4 v[36:37], v[12:15], off
	v_mov_b32_e32 v39, v48
	v_mov_b32_e32 v14, v54
	v_mad_u64_u32 v[14:15], s[0:1], s3, v49, v[14:15]
	v_lshlrev_b64 v[12:13], 4, v[38:39]
	v_add_f64 v[10:11], v[42:43], v[46:47]
	v_mov_b32_e32 v54, v14
	v_mad_u64_u32 v[14:15], s[0:1], s2, v52, 0
	v_add_co_u32_e32 v12, vcc, v55, v12
	v_add_f64 v[26:27], v[44:45], -v[26:27]
	v_add_f64 v[30:31], v[69:70], -v[30:31]
	;; [unrolled: 1-line block ×3, first 2 shown]
	v_addc_co_u32_e32 v13, vcc, v56, v13, vcc
	global_store_dwordx4 v[12:13], v[16:19], off
	v_lshlrev_b64 v[12:13], 4, v[53:54]
	v_mad_u64_u32 v[15:16], s[0:1], s3, v52, v[15:16]
	v_or_b32_e32 v18, 0x80, v50
	v_mad_u64_u32 v[16:17], s[0:1], s2, v18, 0
	v_add_co_u32_e32 v12, vcc, v55, v12
	v_addc_co_u32_e32 v13, vcc, v56, v13, vcc
	global_store_dwordx4 v[12:13], v[0:3], off
	v_fma_f64 v[34:35], v[42:43], 2.0, -v[10:11]
	v_mov_b32_e32 v2, v17
	v_mad_u64_u32 v[2:3], s[0:1], s3, v18, v[2:3]
	v_fma_f64 v[42:43], v[44:45], 2.0, -v[26:27]
	v_fma_f64 v[46:47], v[69:70], 2.0, -v[30:31]
	;; [unrolled: 1-line block ×3, first 2 shown]
	v_or_b32_e32 v12, 0xe0, v50
	v_mov_b32_e32 v17, v2
	v_mad_u64_u32 v[2:3], s[0:1], s2, v12, 0
	v_lshlrev_b64 v[0:1], 4, v[14:15]
	v_or_b32_e32 v15, 0x140, v50
	v_add_co_u32_e32 v0, vcc, v55, v0
	v_addc_co_u32_e32 v1, vcc, v56, v1, vcc
	v_mad_u64_u32 v[12:13], s[0:1], s3, v12, v[3:4]
	global_store_dwordx4 v[0:1], v[44:47], off
	v_lshlrev_b64 v[0:1], 4, v[16:17]
	v_mad_u64_u32 v[13:14], s[0:1], s2, v15, 0
	v_add_co_u32_e32 v0, vcc, v55, v0
	v_addc_co_u32_e32 v1, vcc, v56, v1, vcc
	v_mov_b32_e32 v3, v12
	global_store_dwordx4 v[0:1], v[32:35], off
	v_lshlrev_b64 v[0:1], 4, v[2:3]
	v_mov_b32_e32 v2, v14
	v_mad_u64_u32 v[2:3], s[0:1], s3, v15, v[2:3]
	v_add_co_u32_e32 v0, vcc, v55, v0
	v_mov_b32_e32 v14, v2
	v_mad_u64_u32 v[2:3], s[0:1], s2, v51, 0
	v_addc_co_u32_e32 v1, vcc, v56, v1, vcc
	global_store_dwordx4 v[0:1], v[28:31], off
	v_lshlrev_b64 v[0:1], 4, v[13:14]
	v_mad_u64_u32 v[12:13], s[0:1], s3, v51, v[3:4]
	v_or_b32_e32 v15, 0xa0, v50
	v_mad_u64_u32 v[13:14], s[0:1], s2, v15, 0
	v_add_co_u32_e32 v0, vcc, v55, v0
	v_addc_co_u32_e32 v1, vcc, v56, v1, vcc
	v_mov_b32_e32 v3, v12
	global_store_dwordx4 v[0:1], v[8:11], off
	v_lshlrev_b64 v[0:1], 4, v[2:3]
	v_mov_b32_e32 v2, v14
	v_mad_u64_u32 v[2:3], s[0:1], s3, v15, v[2:3]
	v_or_b32_e32 v8, 0x100, v50
	v_add_co_u32_e32 v0, vcc, v55, v0
	v_mov_b32_e32 v14, v2
	v_mad_u64_u32 v[2:3], s[0:1], s2, v8, 0
	v_addc_co_u32_e32 v1, vcc, v56, v1, vcc
	v_mad_u64_u32 v[8:9], s[0:1], s3, v8, v[3:4]
	v_or_b32_e32 v11, 0x160, v50
	global_store_dwordx4 v[0:1], v[40:43], off
	v_lshlrev_b64 v[0:1], 4, v[13:14]
	v_mad_u64_u32 v[9:10], s[0:1], s2, v11, 0
	v_add_co_u32_e32 v0, vcc, v55, v0
	v_addc_co_u32_e32 v1, vcc, v56, v1, vcc
	v_mov_b32_e32 v3, v8
	global_store_dwordx4 v[0:1], v[20:23], off
	v_lshlrev_b64 v[0:1], 4, v[2:3]
	v_mov_b32_e32 v2, v10
	v_mad_u64_u32 v[2:3], s[0:1], s3, v11, v[2:3]
	v_add_co_u32_e32 v0, vcc, v55, v0
	v_addc_co_u32_e32 v1, vcc, v56, v1, vcc
	v_mov_b32_e32 v10, v2
	global_store_dwordx4 v[0:1], v[24:27], off
	v_lshlrev_b64 v[0:1], 4, v[9:10]
	v_add_co_u32_e32 v0, vcc, v55, v0
	v_addc_co_u32_e32 v1, vcc, v56, v1, vcc
	global_store_dwordx4 v[0:1], v[4:7], off
.LBB0_15:
	s_endpgm
	.section	.rodata,"a",@progbits
	.p2align	6, 0x0
	.amdhsa_kernel fft_rtc_fwd_len384_factors_6_4_4_4_wgs_128_tpt_32_halfLds_dp_ip_CI_sbrr_dirReg
		.amdhsa_group_segment_fixed_size 0
		.amdhsa_private_segment_fixed_size 0
		.amdhsa_kernarg_size 88
		.amdhsa_user_sgpr_count 6
		.amdhsa_user_sgpr_private_segment_buffer 1
		.amdhsa_user_sgpr_dispatch_ptr 0
		.amdhsa_user_sgpr_queue_ptr 0
		.amdhsa_user_sgpr_kernarg_segment_ptr 1
		.amdhsa_user_sgpr_dispatch_id 0
		.amdhsa_user_sgpr_flat_scratch_init 0
		.amdhsa_user_sgpr_private_segment_size 0
		.amdhsa_uses_dynamic_stack 0
		.amdhsa_system_sgpr_private_segment_wavefront_offset 0
		.amdhsa_system_sgpr_workgroup_id_x 1
		.amdhsa_system_sgpr_workgroup_id_y 0
		.amdhsa_system_sgpr_workgroup_id_z 0
		.amdhsa_system_sgpr_workgroup_info 0
		.amdhsa_system_vgpr_workitem_id 0
		.amdhsa_next_free_vgpr 85
		.amdhsa_next_free_sgpr 24
		.amdhsa_reserve_vcc 1
		.amdhsa_reserve_flat_scratch 0
		.amdhsa_float_round_mode_32 0
		.amdhsa_float_round_mode_16_64 0
		.amdhsa_float_denorm_mode_32 3
		.amdhsa_float_denorm_mode_16_64 3
		.amdhsa_dx10_clamp 1
		.amdhsa_ieee_mode 1
		.amdhsa_fp16_overflow 0
		.amdhsa_exception_fp_ieee_invalid_op 0
		.amdhsa_exception_fp_denorm_src 0
		.amdhsa_exception_fp_ieee_div_zero 0
		.amdhsa_exception_fp_ieee_overflow 0
		.amdhsa_exception_fp_ieee_underflow 0
		.amdhsa_exception_fp_ieee_inexact 0
		.amdhsa_exception_int_div_zero 0
	.end_amdhsa_kernel
	.text
.Lfunc_end0:
	.size	fft_rtc_fwd_len384_factors_6_4_4_4_wgs_128_tpt_32_halfLds_dp_ip_CI_sbrr_dirReg, .Lfunc_end0-fft_rtc_fwd_len384_factors_6_4_4_4_wgs_128_tpt_32_halfLds_dp_ip_CI_sbrr_dirReg
                                        ; -- End function
	.section	.AMDGPU.csdata,"",@progbits
; Kernel info:
; codeLenInByte = 6972
; NumSgprs: 28
; NumVgprs: 85
; ScratchSize: 0
; MemoryBound: 1
; FloatMode: 240
; IeeeMode: 1
; LDSByteSize: 0 bytes/workgroup (compile time only)
; SGPRBlocks: 3
; VGPRBlocks: 21
; NumSGPRsForWavesPerEU: 28
; NumVGPRsForWavesPerEU: 85
; Occupancy: 2
; WaveLimiterHint : 1
; COMPUTE_PGM_RSRC2:SCRATCH_EN: 0
; COMPUTE_PGM_RSRC2:USER_SGPR: 6
; COMPUTE_PGM_RSRC2:TRAP_HANDLER: 0
; COMPUTE_PGM_RSRC2:TGID_X_EN: 1
; COMPUTE_PGM_RSRC2:TGID_Y_EN: 0
; COMPUTE_PGM_RSRC2:TGID_Z_EN: 0
; COMPUTE_PGM_RSRC2:TIDIG_COMP_CNT: 0
	.type	__hip_cuid_328ba60cf5ae00f5,@object ; @__hip_cuid_328ba60cf5ae00f5
	.section	.bss,"aw",@nobits
	.globl	__hip_cuid_328ba60cf5ae00f5
__hip_cuid_328ba60cf5ae00f5:
	.byte	0                               ; 0x0
	.size	__hip_cuid_328ba60cf5ae00f5, 1

	.ident	"AMD clang version 19.0.0git (https://github.com/RadeonOpenCompute/llvm-project roc-6.4.0 25133 c7fe45cf4b819c5991fe208aaa96edf142730f1d)"
	.section	".note.GNU-stack","",@progbits
	.addrsig
	.addrsig_sym __hip_cuid_328ba60cf5ae00f5
	.amdgpu_metadata
---
amdhsa.kernels:
  - .args:
      - .actual_access:  read_only
        .address_space:  global
        .offset:         0
        .size:           8
        .value_kind:     global_buffer
      - .offset:         8
        .size:           8
        .value_kind:     by_value
      - .actual_access:  read_only
        .address_space:  global
        .offset:         16
        .size:           8
        .value_kind:     global_buffer
      - .actual_access:  read_only
        .address_space:  global
        .offset:         24
        .size:           8
        .value_kind:     global_buffer
      - .offset:         32
        .size:           8
        .value_kind:     by_value
      - .actual_access:  read_only
        .address_space:  global
        .offset:         40
        .size:           8
        .value_kind:     global_buffer
      - .actual_access:  read_only
        .address_space:  global
        .offset:         48
        .size:           8
        .value_kind:     global_buffer
      - .offset:         56
        .size:           4
        .value_kind:     by_value
      - .actual_access:  read_only
        .address_space:  global
        .offset:         64
        .size:           8
        .value_kind:     global_buffer
      - .actual_access:  read_only
        .address_space:  global
        .offset:         72
        .size:           8
        .value_kind:     global_buffer
      - .address_space:  global
        .offset:         80
        .size:           8
        .value_kind:     global_buffer
    .group_segment_fixed_size: 0
    .kernarg_segment_align: 8
    .kernarg_segment_size: 88
    .language:       OpenCL C
    .language_version:
      - 2
      - 0
    .max_flat_workgroup_size: 128
    .name:           fft_rtc_fwd_len384_factors_6_4_4_4_wgs_128_tpt_32_halfLds_dp_ip_CI_sbrr_dirReg
    .private_segment_fixed_size: 0
    .sgpr_count:     28
    .sgpr_spill_count: 0
    .symbol:         fft_rtc_fwd_len384_factors_6_4_4_4_wgs_128_tpt_32_halfLds_dp_ip_CI_sbrr_dirReg.kd
    .uniform_work_group_size: 1
    .uses_dynamic_stack: false
    .vgpr_count:     85
    .vgpr_spill_count: 0
    .wavefront_size: 64
amdhsa.target:   amdgcn-amd-amdhsa--gfx906
amdhsa.version:
  - 1
  - 2
...

	.end_amdgpu_metadata
